;; amdgpu-corpus repo=zjin-lcf/HeCBench kind=compiled arch=gfx1030 opt=O3
	.amdgcn_target "amdgcn-amd-amdhsa--gfx1030"
	.amdhsa_code_object_version 6
	.text
	.protected	_Z15kernel_distancePK15HIP_vector_typeIfLj4EEPfi ; -- Begin function _Z15kernel_distancePK15HIP_vector_typeIfLj4EEPfi
	.globl	_Z15kernel_distancePK15HIP_vector_typeIfLj4EEPfi
	.p2align	8
	.type	_Z15kernel_distancePK15HIP_vector_typeIfLj4EEPfi,@function
_Z15kernel_distancePK15HIP_vector_typeIfLj4EEPfi: ; @_Z15kernel_distancePK15HIP_vector_typeIfLj4EEPfi
; %bb.0:
	s_clause 0x1
	s_load_dword s0, s[4:5], 0x24
	s_load_dword s1, s[4:5], 0x10
	s_waitcnt lgkmcnt(0)
	s_and_b32 s0, s0, 0xffff
	v_mad_u64_u32 v[4:5], null, s6, s0, v[0:1]
	s_mov_b32 s0, exec_lo
	v_cmpx_gt_i32_e64 s1, v4
	s_cbranch_execz .LBB0_30
; %bb.1:
	s_load_dwordx2 s[0:1], s[4:5], 0x0
	v_ashrrev_i32_e32 v5, 31, v4
                                        ; implicit-def: $vgpr8
                                        ; implicit-def: $vgpr7
	v_lshlrev_b64 v[0:1], 4, v[4:5]
	s_waitcnt lgkmcnt(0)
	v_add_co_u32 v0, vcc_lo, s0, v0
	v_add_co_ci_u32_e64 v1, null, s1, v1, vcc_lo
	global_load_dwordx4 v[0:3], v[0:1], off
	s_waitcnt vmcnt(0)
	v_mul_f32_e32 v0, 0x3c8efa35, v0
	v_and_b32_e32 v6, 0x7fffffff, v0
	v_cmp_ngt_f32_e64 s2, 0x48000000, |v0|
	v_lshrrev_b32_e32 v11, 23, v6
	s_and_saveexec_b32 s0, s2
	s_xor_b32 s3, exec_lo, s0
	s_cbranch_execz .LBB0_3
; %bb.2:
	s_mov_b32 s0, 0x7fffff
	v_mov_b32_e32 v9, 0
	v_and_or_b32 v10, v6, s0, 0x800000
	v_add_nc_u32_e32 v17, 0xffffff88, v11
	v_mad_u64_u32 v[7:8], null, 0xfe5163ab, v10, 0
	v_cmp_lt_u32_e32 vcc_lo, 63, v17
	v_cndmask_b32_e64 v18, 0, 0xffffffc0, vcc_lo
	v_mad_u64_u32 v[12:13], null, 0x3c439041, v10, v[8:9]
	v_add_nc_u32_e32 v18, v18, v17
	v_mov_b32_e32 v8, v13
	v_cmp_lt_u32_e64 s0, 31, v18
	v_mad_u64_u32 v[13:14], null, 0xdb629599, v10, v[8:9]
	v_cndmask_b32_e64 v19, 0, 0xffffffe0, s0
	v_mov_b32_e32 v8, v14
	v_cndmask_b32_e32 v7, v13, v7, vcc_lo
	v_mad_u64_u32 v[14:15], null, 0xf534ddc0, v10, v[8:9]
	v_mov_b32_e32 v8, v15
	v_cndmask_b32_e32 v12, v14, v12, vcc_lo
	v_mad_u64_u32 v[15:16], null, 0xfc2757d1, v10, v[8:9]
	v_cndmask_b32_e64 v7, v12, v7, s0
	v_mov_b32_e32 v8, v16
	v_mad_u64_u32 v[16:17], null, 0x4e441529, v10, v[8:9]
	v_mov_b32_e32 v8, v17
	v_add_nc_u32_e32 v17, v19, v18
	v_cndmask_b32_e32 v18, v16, v14, vcc_lo
	v_mad_u64_u32 v[8:9], null, 0xa2f9836e, v10, v[8:9]
	v_cmp_lt_u32_e64 s1, 31, v17
	v_cndmask_b32_e64 v10, 0, 0xffffffe0, s1
	v_cndmask_b32_e32 v8, v8, v15, vcc_lo
	v_cndmask_b32_e32 v9, v9, v16, vcc_lo
	v_cndmask_b32_e32 v15, v15, v13, vcc_lo
	v_add_nc_u32_e32 v10, v10, v17
	v_cndmask_b32_e64 v14, v8, v18, s0
	v_cndmask_b32_e64 v8, v9, v8, s0
	;; [unrolled: 1-line block ×4, first 2 shown]
	v_sub_nc_u32_e32 v16, 32, v10
	v_cmp_eq_u32_e32 vcc_lo, 0, v10
	v_cndmask_b32_e64 v8, v8, v14, s1
	v_cndmask_b32_e64 v14, v14, v9, s1
	;; [unrolled: 1-line block ×4, first 2 shown]
	v_alignbit_b32 v17, v8, v14, v16
	v_alignbit_b32 v13, v14, v9, v16
	;; [unrolled: 1-line block ×3, first 2 shown]
	v_cndmask_b32_e32 v8, v17, v8, vcc_lo
	v_cndmask_b32_e32 v10, v13, v14, vcc_lo
	;; [unrolled: 1-line block ×3, first 2 shown]
	v_bfe_u32 v12, v8, 29, 1
	v_alignbit_b32 v13, v8, v10, 30
	v_alignbit_b32 v10, v10, v9, 30
	;; [unrolled: 1-line block ×3, first 2 shown]
	v_sub_nc_u32_e32 v14, 0, v12
	v_xor_b32_e32 v13, v13, v14
	v_xor_b32_e32 v9, v10, v14
	v_xor_b32_e32 v7, v7, v14
	v_lshrrev_b32_e32 v14, 29, v8
	v_lshrrev_b32_e32 v8, 30, v8
	v_ffbh_u32_e32 v15, v13
	v_add_nc_u32_e32 v8, v12, v8
	v_min_u32_e32 v15, 32, v15
	v_sub_nc_u32_e32 v10, 31, v15
	v_lshlrev_b32_e32 v16, 23, v15
	v_alignbit_b32 v13, v13, v9, v10
	v_alignbit_b32 v7, v9, v7, v10
	v_lshlrev_b32_e32 v9, 31, v14
	v_alignbit_b32 v10, v13, v7, 9
	v_or_b32_e32 v14, 0.5, v9
	v_lshrrev_b32_e32 v13, 9, v13
	v_or_b32_e32 v9, 0x33000000, v9
	v_ffbh_u32_e32 v17, v10
	v_sub_nc_u32_e32 v14, v14, v16
	v_min_u32_e32 v16, 32, v17
	v_or_b32_e32 v13, v13, v14
	v_not_b32_e32 v14, v16
	v_mul_f32_e32 v17, 0x3fc90fda, v13
	v_add_lshl_u32 v15, v16, v15, 23
	v_alignbit_b32 v7, v10, v7, v14
	v_fma_f32 v10, 0x3fc90fda, v13, -v17
	v_sub_nc_u32_e32 v9, v9, v15
	v_lshrrev_b32_e32 v7, 9, v7
	v_fmamk_f32 v10, v13, 0x33a22168, v10
	v_or_b32_e32 v7, v9, v7
	v_fmac_f32_e32 v10, 0x3fc90fda, v7
	v_add_f32_e32 v7, v17, v10
	s_or_saveexec_b32 s0, s3
	v_mul_f32_e64 v12, 0x3f22f983, |v0|
	s_xor_b32 exec_lo, exec_lo, s0
	s_branch .LBB0_4
.LBB0_3:
	s_or_saveexec_b32 s0, s3
	v_mul_f32_e64 v12, 0x3f22f983, |v0|
	s_xor_b32 exec_lo, exec_lo, s0
.LBB0_4:
	v_rndne_f32_e32 v8, v12
	v_fma_f32 v7, 0xbfc90fda, v8, |v0|
	v_fmamk_f32 v7, v8, 0xb3a22168, v7
	v_fmamk_f32 v7, v8, 0xa7c234c4, v7
	v_cvt_i32_f32_e32 v8, v8
; %bb.5:
	s_or_b32 exec_lo, exec_lo, s0
                                        ; implicit-def: $vgpr10
                                        ; implicit-def: $vgpr9
	s_and_saveexec_b32 s0, s2
	s_xor_b32 s2, exec_lo, s0
	s_cbranch_execz .LBB0_7
; %bb.6:
	s_mov_b32 s0, 0x7fffff
	v_mov_b32_e32 v13, 0
	v_and_or_b32 v18, v6, s0, 0x800000
	v_mad_u64_u32 v[9:10], null, 0xfe5163ab, v18, 0
	v_mov_b32_e32 v12, v10
	v_mad_u64_u32 v[14:15], null, 0x3c439041, v18, v[12:13]
	v_mov_b32_e32 v12, v15
	;; [unrolled: 2-line block ×4, first 2 shown]
	v_add_nc_u32_e32 v17, 0xffffff88, v11
	v_mad_u64_u32 v[10:11], null, 0xfc2757d1, v18, v[12:13]
	v_cmp_lt_u32_e32 vcc_lo, 63, v17
	v_cndmask_b32_e64 v19, 0, 0xffffffc0, vcc_lo
	v_mov_b32_e32 v12, v11
	v_cndmask_b32_e32 v14, v16, v14, vcc_lo
	v_cndmask_b32_e32 v9, v15, v9, vcc_lo
	v_add_nc_u32_e32 v17, v19, v17
	v_mad_u64_u32 v[11:12], null, 0x4e441529, v18, v[12:13]
	v_cmp_lt_u32_e64 s0, 31, v17
	v_mad_u64_u32 v[12:13], null, 0xa2f9836e, v18, v[12:13]
	v_cndmask_b32_e64 v19, 0, 0xffffffe0, s0
	v_cndmask_b32_e64 v9, v14, v9, s0
	v_add_nc_u32_e32 v17, v19, v17
	v_cndmask_b32_e32 v19, v11, v16, vcc_lo
	v_cndmask_b32_e32 v12, v12, v10, vcc_lo
	;; [unrolled: 1-line block ×4, first 2 shown]
	v_cmp_lt_u32_e64 s1, 31, v17
	v_cndmask_b32_e64 v16, v12, v19, s0
	v_cndmask_b32_e64 v11, v11, v12, s0
	;; [unrolled: 1-line block ×7, first 2 shown]
	v_add_nc_u32_e32 v13, v18, v17
	v_cndmask_b32_e64 v12, v12, v10, s1
	v_cndmask_b32_e64 v9, v10, v9, s1
	v_sub_nc_u32_e32 v17, 32, v13
	v_cmp_eq_u32_e32 vcc_lo, 0, v13
	v_alignbit_b32 v18, v11, v16, v17
	v_alignbit_b32 v15, v16, v12, v17
	v_cndmask_b32_e32 v11, v18, v11, vcc_lo
	v_cndmask_b32_e32 v13, v15, v16, vcc_lo
	v_alignbit_b32 v16, v12, v9, v17
	v_bfe_u32 v14, v11, 29, 1
	v_alignbit_b32 v10, v11, v13, 30
	v_cndmask_b32_e32 v12, v16, v12, vcc_lo
	v_sub_nc_u32_e32 v15, 0, v14
	v_alignbit_b32 v13, v13, v12, 30
	v_alignbit_b32 v9, v12, v9, 30
	v_xor_b32_e32 v10, v10, v15
	v_xor_b32_e32 v12, v13, v15
	;; [unrolled: 1-line block ×3, first 2 shown]
	v_lshrrev_b32_e32 v15, 29, v11
	v_ffbh_u32_e32 v16, v10
	v_lshrrev_b32_e32 v11, 30, v11
	v_min_u32_e32 v16, 32, v16
	v_sub_nc_u32_e32 v13, 31, v16
	v_lshlrev_b32_e32 v17, 23, v16
	v_alignbit_b32 v10, v10, v12, v13
	v_alignbit_b32 v9, v12, v9, v13
	v_lshlrev_b32_e32 v12, 31, v15
	v_alignbit_b32 v13, v10, v9, 9
	v_or_b32_e32 v15, 0.5, v12
	v_lshrrev_b32_e32 v10, 9, v10
	v_or_b32_e32 v12, 0x33000000, v12
	v_ffbh_u32_e32 v18, v13
	v_sub_nc_u32_e32 v15, v15, v17
	v_min_u32_e32 v17, 32, v18
	v_or_b32_e32 v10, v10, v15
	v_not_b32_e32 v15, v17
	v_mul_f32_e32 v18, 0x3fc90fda, v10
	v_add_lshl_u32 v16, v17, v16, 23
	v_alignbit_b32 v9, v13, v9, v15
	v_fma_f32 v13, 0x3fc90fda, v10, -v18
	v_sub_nc_u32_e32 v12, v12, v16
	v_lshrrev_b32_e32 v9, 9, v9
	v_fmamk_f32 v10, v10, 0x33a22168, v13
	v_or_b32_e32 v9, v12, v9
                                        ; implicit-def: $vgpr12
	v_fmac_f32_e32 v10, 0x3fc90fda, v9
	v_add_f32_e32 v9, v18, v10
	v_add_nc_u32_e32 v10, v14, v11
	s_andn2_saveexec_b32 s0, s2
	s_cbranch_execnz .LBB0_8
	s_branch .LBB0_9
.LBB0_7:
	s_andn2_saveexec_b32 s0, s2
.LBB0_8:
	v_rndne_f32_e32 v10, v12
	v_fma_f32 v9, 0xbfc90fda, v10, |v0|
	v_fmamk_f32 v9, v10, 0xb3a22168, v9
	v_fmamk_f32 v9, v10, 0xa7c234c4, v9
	v_cvt_i32_f32_e32 v10, v10
.LBB0_9:
	s_or_b32 exec_lo, exec_lo, s0
	v_mul_f32_e32 v2, 0x3c8efa35, v2
                                        ; implicit-def: $vgpr13
                                        ; implicit-def: $vgpr12
	v_and_b32_e32 v11, 0x7fffffff, v2
	v_cmp_ngt_f32_e64 s2, 0x48000000, |v2|
	v_lshrrev_b32_e32 v14, 23, v11
	s_and_saveexec_b32 s0, s2
	s_xor_b32 s3, exec_lo, s0
	s_cbranch_execz .LBB0_11
; %bb.10:
	s_mov_b32 s0, 0x7fffff
	v_mov_b32_e32 v16, 0
	v_and_or_b32 v23, v11, s0, 0x800000
	v_mad_u64_u32 v[12:13], null, 0xfe5163ab, v23, 0
	v_mov_b32_e32 v15, v13
	v_add_nc_u32_e32 v13, 0xffffff88, v14
	v_mad_u64_u32 v[17:18], null, 0x3c439041, v23, v[15:16]
	v_cmp_lt_u32_e32 vcc_lo, 63, v13
	v_cndmask_b32_e64 v22, 0, 0xffffffc0, vcc_lo
	v_mov_b32_e32 v15, v18
	v_add_nc_u32_e32 v13, v22, v13
	v_mad_u64_u32 v[18:19], null, 0xdb629599, v23, v[15:16]
	v_cmp_lt_u32_e64 s0, 31, v13
	v_mov_b32_e32 v15, v19
	v_cndmask_b32_e64 v24, 0, 0xffffffe0, s0
	v_cndmask_b32_e32 v12, v18, v12, vcc_lo
	v_mad_u64_u32 v[19:20], null, 0xf534ddc0, v23, v[15:16]
	v_add_nc_u32_e32 v13, v24, v13
	v_cmp_lt_u32_e64 s1, 31, v13
	v_mov_b32_e32 v15, v20
	v_cndmask_b32_e32 v17, v19, v17, vcc_lo
	v_mad_u64_u32 v[20:21], null, 0xfc2757d1, v23, v[15:16]
	v_cndmask_b32_e64 v12, v17, v12, s0
	v_mov_b32_e32 v15, v21
	v_mad_u64_u32 v[21:22], null, 0x4e441529, v23, v[15:16]
	v_mov_b32_e32 v15, v22
	v_cndmask_b32_e64 v22, 0, 0xffffffe0, s1
	v_mad_u64_u32 v[15:16], null, 0xa2f9836e, v23, v[15:16]
	v_cndmask_b32_e32 v23, v21, v19, vcc_lo
	v_add_nc_u32_e32 v13, v22, v13
	v_cndmask_b32_e32 v15, v15, v20, vcc_lo
	v_cndmask_b32_e32 v16, v16, v21, vcc_lo
	;; [unrolled: 1-line block ×3, first 2 shown]
	v_sub_nc_u32_e32 v21, 32, v13
	v_cmp_eq_u32_e32 vcc_lo, 0, v13
	v_cndmask_b32_e64 v19, v15, v23, s0
	v_cndmask_b32_e64 v15, v16, v15, s0
	;; [unrolled: 1-line block ×8, first 2 shown]
	v_alignbit_b32 v22, v15, v19, v21
	v_alignbit_b32 v18, v19, v16, v21
	;; [unrolled: 1-line block ×3, first 2 shown]
	v_cndmask_b32_e32 v13, v22, v15, vcc_lo
	v_cndmask_b32_e32 v15, v18, v19, vcc_lo
	;; [unrolled: 1-line block ×3, first 2 shown]
	v_bfe_u32 v17, v13, 29, 1
	v_alignbit_b32 v18, v13, v15, 30
	v_alignbit_b32 v15, v15, v16, 30
	v_alignbit_b32 v12, v16, v12, 30
	v_sub_nc_u32_e32 v19, 0, v17
	v_xor_b32_e32 v18, v18, v19
	v_xor_b32_e32 v15, v15, v19
	;; [unrolled: 1-line block ×3, first 2 shown]
	v_lshrrev_b32_e32 v19, 29, v13
	v_lshrrev_b32_e32 v13, 30, v13
	v_ffbh_u32_e32 v20, v18
	v_add_nc_u32_e32 v13, v17, v13
	v_min_u32_e32 v20, 32, v20
	v_sub_nc_u32_e32 v16, 31, v20
	v_lshlrev_b32_e32 v21, 23, v20
	v_alignbit_b32 v18, v18, v15, v16
	v_alignbit_b32 v12, v15, v12, v16
	v_lshlrev_b32_e32 v15, 31, v19
	v_alignbit_b32 v16, v18, v12, 9
	v_or_b32_e32 v19, 0.5, v15
	v_lshrrev_b32_e32 v18, 9, v18
	v_or_b32_e32 v15, 0x33000000, v15
	v_ffbh_u32_e32 v22, v16
	v_sub_nc_u32_e32 v19, v19, v21
	v_min_u32_e32 v21, 32, v22
	v_or_b32_e32 v18, v18, v19
	v_not_b32_e32 v19, v21
	v_mul_f32_e32 v22, 0x3fc90fda, v18
	v_add_lshl_u32 v20, v21, v20, 23
	v_alignbit_b32 v12, v16, v12, v19
	v_fma_f32 v16, 0x3fc90fda, v18, -v22
	v_sub_nc_u32_e32 v15, v15, v20
	v_lshrrev_b32_e32 v12, 9, v12
	v_fmamk_f32 v16, v18, 0x33a22168, v16
	v_or_b32_e32 v12, v15, v12
	v_fmac_f32_e32 v16, 0x3fc90fda, v12
	v_add_f32_e32 v12, v22, v16
	s_or_saveexec_b32 s0, s3
	v_mul_f32_e64 v17, 0x3f22f983, |v2|
	s_xor_b32 exec_lo, exec_lo, s0
	s_branch .LBB0_12
.LBB0_11:
	s_or_saveexec_b32 s0, s3
	v_mul_f32_e64 v17, 0x3f22f983, |v2|
	s_xor_b32 exec_lo, exec_lo, s0
.LBB0_12:
	v_rndne_f32_e32 v13, v17
	v_fma_f32 v12, 0xbfc90fda, v13, |v2|
	v_fmamk_f32 v12, v13, 0xb3a22168, v12
	v_fmamk_f32 v12, v13, 0xa7c234c4, v12
	v_cvt_i32_f32_e32 v13, v13
; %bb.13:
	s_or_b32 exec_lo, exec_lo, s0
                                        ; implicit-def: $vgpr16
                                        ; implicit-def: $vgpr15
	s_and_saveexec_b32 s0, s2
	s_xor_b32 s2, exec_lo, s0
	s_cbranch_execz .LBB0_15
; %bb.14:
	s_mov_b32 s0, 0x7fffff
	v_mov_b32_e32 v17, 0
	v_and_or_b32 v24, v11, s0, 0x800000
	v_add_nc_u32_e32 v14, 0xffffff88, v14
	v_mad_u64_u32 v[15:16], null, 0xfe5163ab, v24, 0
	v_cmp_lt_u32_e32 vcc_lo, 63, v14
	v_cndmask_b32_e64 v23, 0, 0xffffffc0, vcc_lo
	v_mad_u64_u32 v[18:19], null, 0x3c439041, v24, v[16:17]
	v_add_nc_u32_e32 v14, v23, v14
	v_mov_b32_e32 v16, v19
	v_cmp_lt_u32_e64 s0, 31, v14
	v_mad_u64_u32 v[19:20], null, 0xdb629599, v24, v[16:17]
	v_cndmask_b32_e64 v25, 0, 0xffffffe0, s0
	v_add_nc_u32_e32 v14, v25, v14
	v_mov_b32_e32 v16, v20
	v_cndmask_b32_e32 v15, v19, v15, vcc_lo
	v_cmp_lt_u32_e64 s1, 31, v14
	v_mad_u64_u32 v[20:21], null, 0xf534ddc0, v24, v[16:17]
	v_mov_b32_e32 v16, v21
	v_cndmask_b32_e32 v18, v20, v18, vcc_lo
	v_mad_u64_u32 v[21:22], null, 0xfc2757d1, v24, v[16:17]
	v_cndmask_b32_e64 v15, v18, v15, s0
	v_mov_b32_e32 v16, v22
	v_mad_u64_u32 v[22:23], null, 0x4e441529, v24, v[16:17]
	v_mov_b32_e32 v16, v23
	v_cndmask_b32_e64 v23, 0, 0xffffffe0, s1
	v_mad_u64_u32 v[16:17], null, 0xa2f9836e, v24, v[16:17]
	v_cndmask_b32_e32 v24, v22, v20, vcc_lo
	v_add_nc_u32_e32 v14, v23, v14
	v_cndmask_b32_e32 v16, v16, v21, vcc_lo
	v_cndmask_b32_e32 v17, v17, v22, vcc_lo
	;; [unrolled: 1-line block ×3, first 2 shown]
	v_sub_nc_u32_e32 v22, 32, v14
	v_cmp_eq_u32_e32 vcc_lo, 0, v14
	v_cndmask_b32_e64 v20, v16, v24, s0
	v_cndmask_b32_e64 v16, v17, v16, s0
	;; [unrolled: 1-line block ×8, first 2 shown]
	v_alignbit_b32 v23, v16, v20, v22
	v_alignbit_b32 v19, v20, v17, v22
	;; [unrolled: 1-line block ×3, first 2 shown]
	v_cndmask_b32_e32 v14, v23, v16, vcc_lo
	v_cndmask_b32_e32 v16, v19, v20, vcc_lo
	;; [unrolled: 1-line block ×3, first 2 shown]
	v_bfe_u32 v18, v14, 29, 1
	v_alignbit_b32 v19, v14, v16, 30
	v_alignbit_b32 v16, v16, v17, 30
	;; [unrolled: 1-line block ×3, first 2 shown]
	v_sub_nc_u32_e32 v20, 0, v18
	v_xor_b32_e32 v19, v19, v20
	v_xor_b32_e32 v16, v16, v20
	;; [unrolled: 1-line block ×3, first 2 shown]
	v_lshrrev_b32_e32 v20, 29, v14
	v_lshrrev_b32_e32 v14, 30, v14
	v_ffbh_u32_e32 v21, v19
	v_min_u32_e32 v21, 32, v21
	v_sub_nc_u32_e32 v17, 31, v21
	v_lshlrev_b32_e32 v22, 23, v21
	v_alignbit_b32 v19, v19, v16, v17
	v_alignbit_b32 v15, v16, v15, v17
	v_lshlrev_b32_e32 v16, 31, v20
	v_alignbit_b32 v17, v19, v15, 9
	v_or_b32_e32 v20, 0.5, v16
	v_lshrrev_b32_e32 v19, 9, v19
	v_or_b32_e32 v16, 0x33000000, v16
	v_ffbh_u32_e32 v23, v17
	v_sub_nc_u32_e32 v20, v20, v22
	v_min_u32_e32 v22, 32, v23
	v_or_b32_e32 v19, v19, v20
	v_not_b32_e32 v20, v22
	v_mul_f32_e32 v23, 0x3fc90fda, v19
	v_add_lshl_u32 v21, v22, v21, 23
	v_alignbit_b32 v15, v17, v15, v20
	v_fma_f32 v17, 0x3fc90fda, v19, -v23
	v_sub_nc_u32_e32 v16, v16, v21
	v_lshrrev_b32_e32 v15, 9, v15
	v_fmamk_f32 v17, v19, 0x33a22168, v17
	v_or_b32_e32 v15, v16, v15
	v_add_nc_u32_e32 v16, v18, v14
	v_fmac_f32_e32 v17, 0x3fc90fda, v15
	v_add_f32_e32 v15, v23, v17
                                        ; implicit-def: $vgpr17
	s_or_saveexec_b32 s0, s2
	s_load_dwordx2 s[2:3], s[4:5], 0x8
	s_xor_b32 exec_lo, exec_lo, s0
	s_cbranch_execnz .LBB0_16
	s_branch .LBB0_17
.LBB0_15:
	s_or_saveexec_b32 s0, s2
	s_load_dwordx2 s[2:3], s[4:5], 0x8
	s_xor_b32 exec_lo, exec_lo, s0
.LBB0_16:
	v_rndne_f32_e32 v14, v17
	v_fma_f32 v15, 0xbfc90fda, v14, |v2|
	v_cvt_i32_f32_e32 v16, v14
	v_fmamk_f32 v15, v14, 0xb3a22168, v15
	v_fmamk_f32 v15, v14, 0xa7c234c4, v15
.LBB0_17:
	s_or_b32 exec_lo, exec_lo, s0
	v_mul_f32_e32 v14, v12, v12
	s_mov_b32 s4, 0xb94c1982
	s_mov_b32 s5, 0x37d75334
	v_mul_f32_e32 v19, v7, v7
	v_and_b32_e32 v20, 1, v13
	v_fmaak_f32 v17, s4, v14, 0x3c0881c4
	v_fmaak_f32 v18, s5, v14, 0xbab64f3b
	v_lshlrev_b32_e32 v13, 30, v13
	v_fmaak_f32 v21, s4, v19, 0x3c0881c4
	v_fmaak_f32 v22, s5, v19, 0xbab64f3b
	;; [unrolled: 1-line block ×4, first 2 shown]
	v_and_b32_e32 v23, 1, v8
	v_fmaak_f32 v21, v19, v21, 0xbe2aaa9d
	v_fmaak_f32 v22, v19, v22, 0x3d2aabf7
	v_mul_f32_e32 v17, v14, v17
	v_fmaak_f32 v18, v14, v18, 0xbf000004
	v_cmp_eq_u32_e32 vcc_lo, 0, v20
	v_xor_b32_e32 v11, v11, v2
	v_and_b32_e32 v13, 0x80000000, v13
	v_fmac_f32_e32 v12, v12, v17
	v_fma_f32 v14, v14, v18, 1.0
	v_mul_f32_e32 v17, v19, v21
	v_fmaak_f32 v18, v19, v22, 0xbf000004
	v_lshlrev_b32_e32 v8, 30, v8
	v_xor_b32_e32 v6, v6, v0
	v_cndmask_b32_e32 v12, v14, v12, vcc_lo
	v_fmac_f32_e32 v7, v7, v17
	v_fma_f32 v14, v19, v18, 1.0
	v_mul_f32_e32 v17, v9, v9
	v_cmp_eq_u32_e32 vcc_lo, 0, v23
	v_xor3_b32 v11, v11, v13, v12
	v_mul_f32_e32 v13, v15, v15
	v_and_b32_e32 v8, 0x80000000, v8
	v_fmaak_f32 v12, s4, v17, 0x3c0881c4
	v_cndmask_b32_e32 v7, v14, v7, vcc_lo
	v_fmaak_f32 v14, s5, v17, 0xbab64f3b
	v_fmaak_f32 v18, s4, v13, 0x3c0881c4
	;; [unrolled: 1-line block ×4, first 2 shown]
	v_xor3_b32 v6, v6, v8, v7
	v_fmaak_f32 v14, v17, v14, 0x3d2aabf7
	v_fmaak_f32 v8, v13, v18, 0xbe2aaa9d
	v_cmp_class_f32_e64 s0, v2, 0x1f8
	v_mul_f32_e32 v7, v17, v12
	v_fmaak_f32 v12, v13, v19, 0x3d2aabf7
	v_fmaak_f32 v14, v17, v14, 0xbf000004
	v_mul_f32_e32 v6, 0x3f7f2445, v6
	s_mov_b32 s6, 0
	v_fmac_f32_e32 v9, v9, v7
	v_mul_f32_e32 v7, v13, v8
	v_fmaak_f32 v8, v13, v12, 0xbf000004
	v_fma_f32 v12, v17, v14, 1.0
	v_and_b32_e32 v14, 1, v10
	v_lshlrev_b32_e32 v10, 30, v10
	v_fmac_f32_e32 v15, v15, v7
	v_fma_f32 v7, v13, v8, 1.0
	v_and_b32_e32 v8, 1, v16
	v_cmp_eq_u32_e32 vcc_lo, 0, v14
	v_lshlrev_b32_e32 v13, 30, v16
	v_and_b32_e32 v10, 0x80000000, v10
	s_mov_b32 s7, 0x7fffff
	s_mov_b32 s8, 0x3b2d2a58
	v_cndmask_b32_e64 v9, -v9, v12, vcc_lo
	v_cmp_eq_u32_e32 vcc_lo, 0, v8
	v_and_b32_e32 v8, 0x80000000, v13
	v_cndmask_b32_e64 v7, -v15, v7, vcc_lo
	v_cmp_class_f32_e64 vcc_lo, v0, 0x1f8
	v_xor_b32_e32 v0, v10, v9
	v_mul_f32_e32 v9, 0x3f7f2445, v11
	v_xor_b32_e32 v2, v8, v7
	v_cndmask_b32_e32 v6, 0x7fc00000, v6, vcc_lo
	v_cndmask_b32_e32 v0, 0x7fc00000, v0, vcc_lo
	v_cndmask_b32_e64 v7, 0x7fc00000, v9, s0
	v_cndmask_b32_e64 v2, 0x7fc00000, v2, s0
	v_div_scale_f32 v8, null, v0, v0, v6
	v_div_scale_f32 v9, null, v2, v2, v7
	v_rcp_f32_e32 v10, v8
	v_rcp_f32_e32 v11, v9
	v_fma_f32 v12, -v8, v10, 1.0
	v_fma_f32 v13, -v9, v11, 1.0
	v_fmac_f32_e32 v10, v12, v10
	v_div_scale_f32 v12, vcc_lo, v6, v0, v6
	v_fmac_f32_e32 v11, v13, v11
	v_div_scale_f32 v13, s0, v7, v2, v7
	v_mul_f32_e32 v14, v12, v10
	v_mul_f32_e32 v15, v13, v11
	v_fma_f32 v16, -v8, v14, v12
	v_fma_f32 v17, -v9, v15, v13
	v_fmac_f32_e32 v14, v16, v10
	v_fmac_f32_e32 v15, v17, v11
	v_fma_f32 v8, -v8, v14, v12
	v_fma_f32 v9, -v9, v15, v13
	v_div_fmas_f32 v8, v8, v10, v14
	s_mov_b32 vcc_lo, s0
	v_div_fmas_f32 v9, v9, v11, v15
	v_div_fixup_f32 v0, v8, v0, v6
	v_div_fixup_f32 v7, v9, v2, v7
	v_fma_f32 v2, v0, v0, 1.0
	v_fma_f32 v6, v7, v7, 1.0
	v_mul_f32_e32 v8, 0x4f800000, v2
	v_cmp_gt_f32_e32 vcc_lo, 0xf800000, v2
	v_mul_f32_e32 v9, 0x4f800000, v6
	v_cmp_gt_f32_e64 s0, 0xf800000, v6
	v_cndmask_b32_e32 v2, v2, v8, vcc_lo
	v_cndmask_b32_e64 v6, v6, v9, s0
	v_sqrt_f32_e32 v8, v2
	v_sqrt_f32_e32 v9, v6
	v_add_nc_u32_e32 v10, -1, v8
	v_add_nc_u32_e32 v12, 1, v8
	v_add_nc_u32_e32 v11, -1, v9
	v_add_nc_u32_e32 v13, 1, v9
	v_fma_f32 v14, -v10, v8, v2
	v_fma_f32 v16, -v12, v8, v2
	;; [unrolled: 1-line block ×4, first 2 shown]
	v_cmp_ge_f32_e64 s1, 0, v14
	v_cndmask_b32_e64 v8, v8, v10, s1
	v_cmp_ge_f32_e64 s1, 0, v15
	v_cndmask_b32_e64 v9, v9, v11, s1
	v_cmp_lt_f32_e64 s1, 0, v16
	v_cndmask_b32_e64 v8, v8, v12, s1
	v_cmp_lt_f32_e64 s1, 0, v17
	v_mul_f32_e32 v10, 0x37800000, v8
	v_cndmask_b32_e64 v9, v9, v13, s1
	v_cndmask_b32_e32 v8, v8, v10, vcc_lo
	v_mul_f32_e32 v11, 0x37800000, v9
	v_cmp_class_f32_e64 vcc_lo, v2, 0x260
	v_cndmask_b32_e64 v9, v9, v11, s0
	v_cndmask_b32_e32 v2, v8, v2, vcc_lo
	v_cmp_class_f32_e64 vcc_lo, v6, 0x260
	v_div_scale_f32 v8, null, v2, v2, 1.0
	v_cndmask_b32_e32 v6, v9, v6, vcc_lo
	v_div_scale_f32 v14, vcc_lo, 1.0, v2, 1.0
	v_rcp_f32_e32 v10, v8
	v_div_scale_f32 v9, null, v6, v6, 1.0
	v_rcp_f32_e32 v11, v9
	v_fma_f32 v12, -v8, v10, 1.0
	v_fmac_f32_e32 v10, v12, v10
	v_div_scale_f32 v12, s0, 1.0, v6, 1.0
	v_fma_f32 v13, -v9, v11, 1.0
	v_fmac_f32_e32 v11, v13, v11
	v_mul_f32_e32 v13, v14, v10
	v_mul_f32_e32 v15, v12, v11
	v_fma_f32 v16, -v8, v13, v14
	v_fma_f32 v17, -v9, v15, v12
	v_fmac_f32_e32 v13, v16, v10
	v_fmac_f32_e32 v15, v17, v11
	v_fma_f32 v8, -v8, v13, v14
	v_fma_f32 v9, -v9, v15, v12
	v_div_fmas_f32 v8, v8, v10, v13
	s_mov_b32 vcc_lo, s0
	v_mov_b32_e32 v12, 0x4016cbe4
	v_div_fmas_f32 v9, v9, v11, v15
	v_div_fixup_f32 v10, v8, v2, 1.0
	v_mul_f32_e32 v8, 0x3c8efa35, v1
	v_mov_b32_e32 v1, 0
	v_div_fixup_f32 v2, v9, v6, 1.0
	v_mul_f32_e32 v11, v0, v10
	v_fma_f32 v13, 0x3c8efa35, v3, -v8
	v_mul_f32_e32 v6, v10, v2
	v_mul_f32_e32 v10, 0x3c8efa35, v3
	;; [unrolled: 1-line block ×5, first 2 shown]
	v_add_f32_e32 v11, v9, v9
	s_branch .LBB0_19
.LBB0_18:                               ;   in Loop: Header=BB0_19 Depth=1
	s_or_b32 exec_lo, exec_lo, s0
	v_max_f32_e64 v19, |v0|, |v0|
	v_max_f32_e64 v20, |v16|, |v16|
	v_cmp_gt_f32_e64 vcc_lo, |v0|, |v16|
	v_mul_f32_e32 v23, v14, v14
	v_cmp_class_f32_e64 s0, v16, 0x204
	v_cmp_class_f32_e64 s1, v0, 0x204
	v_max_f32_e32 v21, v20, v19
	v_min_f32_e32 v19, v20, v19
	v_frexp_mant_f32_e32 v22, v21
	v_frexp_exp_i32_f32_e32 v21, v21
	v_rcp_f32_e32 v20, v22
	v_frexp_exp_i32_f32_e32 v22, v19
	v_frexp_mant_f32_e32 v19, v19
	v_sub_nc_u32_e32 v21, v22, v21
	v_mul_f32_e32 v19, v19, v20
	v_ldexp_f32 v19, v19, v21
	v_mul_f32_e32 v20, v19, v19
	v_fmaak_f32 v21, s8, v20, 0xbc7a590c
	v_fmaak_f32 v21, v20, v21, 0x3d29fb3f
	;; [unrolled: 1-line block ×7, first 2 shown]
	v_mul_f32_e32 v20, v20, v21
	v_fma_f32 v21, 0xc0400000, v17, 4.0
	v_fmac_f32_e32 v19, v19, v20
	v_sub_f32_e32 v20, 0x3fc90fdb, v19
	v_cndmask_b32_e32 v19, v19, v20, vcc_lo
	v_cmp_gt_i32_e32 vcc_lo, 0, v16
	v_fma_f32 v20, 0x3b5bbad4, v21, 4.0
	v_sub_f32_e32 v22, 0x40490fdb, v19
	v_cndmask_b32_e64 v21, 0, 0x40490fdb, vcc_lo
	v_cmp_gt_f32_e32 vcc_lo, 0, v16
	v_mul_f32_e32 v20, v17, v20
	v_cndmask_b32_e32 v22, v19, v22, vcc_lo
	v_fma_f32 v19, v23, 2.0, -1.0
	v_cndmask_b32_e32 v23, 0x3f490fdb, v12, vcc_lo
	v_cmp_eq_f32_e32 vcc_lo, 0, v15
	v_mul_f32_e32 v20, 0x3b5bbad4, v20
	v_mul_f32_e32 v15, v16, v19
	v_cndmask_b32_e32 v21, v22, v21, vcc_lo
	s_and_b32 vcc_lo, s0, s1
	v_mul_f32_e32 v22, 0x3d800000, v20
	v_fma_f32 v20, 0xbd800000, v20, 1.0
	v_cndmask_b32_e32 v21, v21, v23, vcc_lo
	v_cmp_o_f32_e32 vcc_lo, v16, v0
	v_fma_f32 v23, v22, v15, v14
	v_cndmask_b32_e32 v16, 0x7fc00000, v21, vcc_lo
	v_mul_f32_e32 v21, v0, v23
	v_bfi_b32 v16, 0x7fffffff, v16, v0
	v_fma_f32 v21, v22, v21, v16
	v_mul_f32_e32 v18, v18, v21
	v_mul_f32_e32 v18, v20, v18
	v_fmamk_f32 v18, v18, 0x3b5bbad4, v10
	v_sub_f32_e32 v18, v18, v8
	v_sub_f32_e32 v13, v13, v18
	v_cmp_nlt_f32_e64 s0, 0x36a7c5ac, |v13|
	v_mov_b32_e32 v13, v18
	s_or_b32 s6, s0, s6
	s_andn2_b32 exec_lo, exec_lo, s6
	s_cbranch_execz .LBB0_29
.LBB0_19:                               ; =>This Inner Loop Header: Depth=1
	v_and_b32_e32 v14, 0x7fffffff, v13
	v_cmp_ngt_f32_e64 s9, 0x48000000, |v13|
                                        ; implicit-def: $vgpr16
                                        ; implicit-def: $vgpr15
	v_lshrrev_b32_e32 v0, 23, v14
	v_and_or_b32 v17, v14, s7, 0x800000
	v_add_nc_u32_e32 v18, 0xffffff88, v0
	s_and_saveexec_b32 s0, s9
	s_xor_b32 s10, exec_lo, s0
	s_cbranch_execz .LBB0_21
; %bb.20:                               ;   in Loop: Header=BB0_19 Depth=1
	v_mad_u64_u32 v[15:16], null, 0xfe5163ab, v17, 0
	v_cmp_lt_u32_e32 vcc_lo, 63, v18
	v_mov_b32_e32 v0, v16
	v_cndmask_b32_e64 v16, 0, 0xffffffc0, vcc_lo
	v_mad_u64_u32 v[19:20], null, 0x3c439041, v17, v[0:1]
	v_add_nc_u32_e32 v16, v16, v18
	v_cmp_lt_u32_e64 s0, 31, v16
	v_mov_b32_e32 v0, v20
	v_cndmask_b32_e64 v25, 0, 0xffffffe0, s0
	v_mad_u64_u32 v[20:21], null, 0xdb629599, v17, v[0:1]
	v_add_nc_u32_e32 v16, v25, v16
	v_mov_b32_e32 v0, v21
	v_cmp_lt_u32_e64 s1, 31, v16
	v_cndmask_b32_e32 v15, v20, v15, vcc_lo
	v_mad_u64_u32 v[21:22], null, 0xf534ddc0, v17, v[0:1]
	v_mov_b32_e32 v0, v22
	v_mad_u64_u32 v[22:23], null, 0xfc2757d1, v17, v[0:1]
	v_mov_b32_e32 v0, v23
	;; [unrolled: 2-line block ×3, first 2 shown]
	v_cndmask_b32_e32 v26, v23, v21, vcc_lo
	v_mad_u64_u32 v[24:25], null, 0xa2f9836e, v17, v[0:1]
	v_cndmask_b32_e64 v0, 0, 0xffffffe0, s1
	v_add_nc_u32_e32 v0, v0, v16
	v_cndmask_b32_e32 v24, v24, v22, vcc_lo
	v_cndmask_b32_e32 v23, v25, v23, vcc_lo
	;; [unrolled: 1-line block ×4, first 2 shown]
	v_cmp_eq_u32_e32 vcc_lo, 0, v0
	v_cndmask_b32_e64 v19, v24, v26, s0
	v_cndmask_b32_e64 v21, v23, v24, s0
	v_cndmask_b32_e64 v23, v26, v22, s0
	v_sub_nc_u32_e32 v24, 32, v0
	v_cndmask_b32_e64 v22, v22, v16, s0
	v_cndmask_b32_e64 v15, v16, v15, s0
	;; [unrolled: 1-line block ×6, first 2 shown]
	v_alignbit_b32 v25, v21, v19, v24
	v_alignbit_b32 v20, v19, v23, v24
	;; [unrolled: 1-line block ×3, first 2 shown]
	v_cndmask_b32_e32 v0, v25, v21, vcc_lo
	v_cndmask_b32_e32 v16, v20, v19, vcc_lo
	;; [unrolled: 1-line block ×3, first 2 shown]
	v_bfe_u32 v19, v0, 29, 1
	v_alignbit_b32 v20, v0, v16, 30
	v_alignbit_b32 v16, v16, v22, 30
	;; [unrolled: 1-line block ×3, first 2 shown]
	v_sub_nc_u32_e32 v21, 0, v19
	v_xor_b32_e32 v20, v20, v21
	v_xor_b32_e32 v16, v16, v21
	;; [unrolled: 1-line block ×3, first 2 shown]
	v_lshrrev_b32_e32 v21, 29, v0
	v_lshrrev_b32_e32 v0, 30, v0
	v_ffbh_u32_e32 v23, v20
	v_min_u32_e32 v23, 32, v23
	v_sub_nc_u32_e32 v22, 31, v23
	v_lshlrev_b32_e32 v24, 23, v23
	v_alignbit_b32 v20, v20, v16, v22
	v_alignbit_b32 v15, v16, v15, v22
	v_lshlrev_b32_e32 v16, 31, v21
	v_alignbit_b32 v21, v20, v15, 9
	v_or_b32_e32 v22, 0.5, v16
	v_lshrrev_b32_e32 v20, 9, v20
	v_or_b32_e32 v16, 0x33000000, v16
	v_ffbh_u32_e32 v25, v21
	v_sub_nc_u32_e32 v22, v22, v24
	v_min_u32_e32 v24, 32, v25
	v_or_b32_e32 v20, v20, v22
	v_not_b32_e32 v22, v24
	v_mul_f32_e32 v25, 0x3fc90fda, v20
	v_add_lshl_u32 v23, v24, v23, 23
	v_alignbit_b32 v15, v21, v15, v22
	v_fma_f32 v21, 0x3fc90fda, v20, -v25
	v_sub_nc_u32_e32 v16, v16, v23
	v_lshrrev_b32_e32 v15, 9, v15
	v_fmac_f32_e32 v21, 0x33a22168, v20
	v_or_b32_e32 v15, v16, v15
	v_add_nc_u32_e32 v16, v19, v0
	v_fmac_f32_e32 v21, 0x3fc90fda, v15
	v_add_f32_e32 v15, v25, v21
.LBB0_21:                               ;   in Loop: Header=BB0_19 Depth=1
	s_or_saveexec_b32 s0, s10
	v_mul_f32_e64 v0, 0x3f22f983, |v13|
	v_rndne_f32_e32 v20, v0
	s_xor_b32 exec_lo, exec_lo, s0
; %bb.22:                               ;   in Loop: Header=BB0_19 Depth=1
	v_fma_f32 v15, 0xbfc90fda, v20, |v13|
	v_cvt_i32_f32_e32 v16, v20
	v_fmac_f32_e32 v15, 0xb3a22168, v20
	v_fmac_f32_e32 v15, 0xa7c234c4, v20
; %bb.23:                               ;   in Loop: Header=BB0_19 Depth=1
	s_or_b32 exec_lo, exec_lo, s0
                                        ; implicit-def: $vgpr19
                                        ; implicit-def: $vgpr0
	s_and_saveexec_b32 s0, s9
	s_xor_b32 s9, exec_lo, s0
	s_cbranch_execz .LBB0_25
; %bb.24:                               ;   in Loop: Header=BB0_19 Depth=1
	v_mad_u64_u32 v[19:20], null, 0xfe5163ab, v17, 0
	v_cmp_lt_u32_e32 vcc_lo, 63, v18
	v_cndmask_b32_e64 v25, 0, 0xffffffc0, vcc_lo
	v_mov_b32_e32 v0, v20
	v_add_nc_u32_e32 v18, v25, v18
	v_mad_u64_u32 v[20:21], null, 0x3c439041, v17, v[0:1]
	v_cmp_lt_u32_e64 s0, 31, v18
	v_mov_b32_e32 v0, v21
	v_cndmask_b32_e64 v26, 0, 0xffffffe0, s0
	v_mad_u64_u32 v[21:22], null, 0xdb629599, v17, v[0:1]
	v_mov_b32_e32 v0, v22
	v_cndmask_b32_e32 v19, v21, v19, vcc_lo
	v_mad_u64_u32 v[22:23], null, 0xf534ddc0, v17, v[0:1]
	v_mov_b32_e32 v0, v23
	v_cndmask_b32_e32 v20, v22, v20, vcc_lo
	v_mad_u64_u32 v[23:24], null, 0xfc2757d1, v17, v[0:1]
	v_mov_b32_e32 v0, v24
	v_mad_u64_u32 v[24:25], null, 0x4e441529, v17, v[0:1]
	v_mov_b32_e32 v0, v25
	v_add_nc_u32_e32 v25, v26, v18
	v_cndmask_b32_e32 v26, v24, v22, vcc_lo
	v_mad_u64_u32 v[17:18], null, 0xa2f9836e, v17, v[0:1]
	v_cmp_lt_u32_e64 s1, 31, v25
	v_cndmask_b32_e64 v0, 0, 0xffffffe0, s1
	v_cndmask_b32_e32 v17, v17, v23, vcc_lo
	v_cndmask_b32_e32 v18, v18, v24, vcc_lo
	;; [unrolled: 1-line block ×3, first 2 shown]
	v_add_nc_u32_e32 v0, v0, v25
	v_cndmask_b32_e64 v22, v17, v26, s0
	v_cndmask_b32_e64 v17, v18, v17, s0
	;; [unrolled: 1-line block ×4, first 2 shown]
	v_sub_nc_u32_e32 v24, 32, v0
	v_cmp_eq_u32_e32 vcc_lo, 0, v0
	v_cndmask_b32_e64 v17, v17, v22, s1
	v_cndmask_b32_e64 v22, v22, v18, s1
	;; [unrolled: 1-line block ×3, first 2 shown]
	v_alignbit_b32 v25, v17, v22, v24
	v_alignbit_b32 v21, v22, v18, v24
	v_cndmask_b32_e32 v0, v25, v17, vcc_lo
	v_cndmask_b32_e64 v17, v20, v19, s0
	v_cndmask_b32_e32 v19, v21, v22, vcc_lo
	v_bfe_u32 v20, v0, 29, 1
	v_cndmask_b32_e64 v17, v23, v17, s1
	v_alignbit_b32 v21, v0, v19, 30
	v_sub_nc_u32_e32 v22, 0, v20
	v_alignbit_b32 v23, v18, v17, v24
	v_xor_b32_e32 v21, v21, v22
	v_cndmask_b32_e32 v18, v23, v18, vcc_lo
	v_ffbh_u32_e32 v23, v21
	v_alignbit_b32 v19, v19, v18, 30
	v_alignbit_b32 v17, v18, v17, 30
	v_min_u32_e32 v23, 32, v23
	v_xor_b32_e32 v18, v19, v22
	v_xor_b32_e32 v17, v17, v22
	v_lshrrev_b32_e32 v22, 29, v0
	v_sub_nc_u32_e32 v19, 31, v23
	v_lshlrev_b32_e32 v24, 23, v23
	v_alignbit_b32 v21, v21, v18, v19
	v_alignbit_b32 v17, v18, v17, v19
	v_lshlrev_b32_e32 v18, 31, v22
	v_alignbit_b32 v19, v21, v17, 9
	v_or_b32_e32 v22, 0.5, v18
	v_lshrrev_b32_e32 v21, 9, v21
	v_or_b32_e32 v18, 0x33000000, v18
	v_ffbh_u32_e32 v25, v19
	v_sub_nc_u32_e32 v22, v22, v24
	v_min_u32_e32 v24, 32, v25
	v_or_b32_e32 v21, v21, v22
	v_not_b32_e32 v22, v24
	v_mul_f32_e32 v25, 0x3fc90fda, v21
	v_add_lshl_u32 v23, v24, v23, 23
	v_alignbit_b32 v17, v19, v17, v22
	v_fma_f32 v19, 0x3fc90fda, v21, -v25
	v_sub_nc_u32_e32 v18, v18, v23
	v_lshrrev_b32_e32 v17, 9, v17
	v_fmac_f32_e32 v19, 0x33a22168, v21
	v_or_b32_e32 v17, v18, v17
	v_fmac_f32_e32 v19, 0x3fc90fda, v17
	v_lshrrev_b32_e32 v17, 30, v0
	v_add_f32_e32 v0, v25, v19
	v_add_nc_u32_e32 v19, v20, v17
                                        ; implicit-def: $vgpr20
	s_andn2_saveexec_b32 s0, s9
	s_cbranch_execnz .LBB0_26
	s_branch .LBB0_27
.LBB0_25:                               ;   in Loop: Header=BB0_19 Depth=1
	s_andn2_saveexec_b32 s0, s9
.LBB0_26:                               ;   in Loop: Header=BB0_19 Depth=1
	v_fma_f32 v0, 0xbfc90fda, v20, |v13|
	v_cvt_i32_f32_e32 v19, v20
	v_fmac_f32_e32 v0, 0xb3a22168, v20
	v_fmac_f32_e32 v0, 0xa7c234c4, v20
.LBB0_27:                               ;   in Loop: Header=BB0_19 Depth=1
	s_or_b32 exec_lo, exec_lo, s0
	v_mul_f32_e32 v17, v15, v15
	v_mul_f32_e32 v20, v0, v0
	v_and_b32_e32 v18, 1, v16
	v_and_b32_e32 v25, 1, v19
	v_lshlrev_b32_e32 v19, 30, v19
	v_fmaak_f32 v21, s4, v17, 0x3c0881c4
	v_fmaak_f32 v22, s5, v17, 0xbab64f3b
	;; [unrolled: 1-line block ×4, first 2 shown]
	v_cmp_eq_u32_e32 vcc_lo, 0, v18
	v_fmaak_f32 v21, v17, v21, 0xbe2aaa9d
	v_fmaak_f32 v22, v17, v22, 0x3d2aabf7
	;; [unrolled: 1-line block ×4, first 2 shown]
	v_lshlrev_b32_e32 v16, 30, v16
	v_mul_f32_e32 v21, v17, v21
	v_fmaak_f32 v22, v17, v22, 0xbf000004
	v_mul_f32_e32 v23, v20, v23
	v_fmaak_f32 v24, v20, v24, 0xbf000004
	v_xor_b32_e32 v14, v14, v13
	v_fmac_f32_e32 v15, v15, v21
	v_fma_f32 v17, v17, v22, 1.0
	v_fmac_f32_e32 v0, v0, v23
	v_fma_f32 v20, v20, v24, 1.0
	v_and_b32_e32 v16, 0x80000000, v16
	v_cndmask_b32_e32 v15, v17, v15, vcc_lo
	v_cmp_eq_u32_e32 vcc_lo, 0, v25
	v_and_b32_e32 v17, 0x80000000, v19
	v_xor3_b32 v14, v14, v16, v15
	v_cndmask_b32_e64 v0, -v0, v20, vcc_lo
	v_cmp_class_f32_e64 vcc_lo, v13, 0x1f8
	v_xor_b32_e32 v0, v17, v0
	v_cndmask_b32_e32 v14, 0x7fc00000, v14, vcc_lo
	v_cndmask_b32_e32 v16, 0x7fc00000, v0, vcc_lo
	v_mul_f32_e32 v17, v2, v14
	v_mul_f32_e32 v14, v6, v14
	v_fma_f32 v0, -v3, v16, v7
	v_fma_f32 v16, v6, v16, v9
	v_mul_f32_e32 v15, v0, v0
	v_fmac_f32_e32 v15, v17, v17
	v_mul_f32_e32 v0, 0x4f800000, v15
	v_cmp_gt_f32_e32 vcc_lo, 0xf800000, v15
	v_cndmask_b32_e32 v0, v15, v0, vcc_lo
	v_sqrt_f32_e32 v17, v0
	v_add_nc_u32_e32 v18, -1, v17
	v_add_nc_u32_e32 v19, 1, v17
	v_fma_f32 v20, -v18, v17, v0
	v_fma_f32 v21, -v19, v17, v0
	v_cmp_ge_f32_e64 s0, 0, v20
	v_cndmask_b32_e64 v17, v17, v18, s0
	v_cmp_lt_f32_e64 s0, 0, v21
	v_cndmask_b32_e64 v17, v17, v19, s0
	s_mov_b32 s0, exec_lo
	v_mul_f32_e32 v18, 0x37800000, v17
	v_cndmask_b32_e32 v17, v17, v18, vcc_lo
	v_cmp_class_f32_e64 vcc_lo, v0, 0x260
	v_cndmask_b32_e32 v0, v17, v0, vcc_lo
	v_div_scale_f32 v17, null, v0, v0, v14
	v_div_scale_f32 v20, vcc_lo, v14, v0, v14
	v_rcp_f32_e32 v18, v17
	v_fma_f32 v19, -v17, v18, 1.0
	v_fmac_f32_e32 v18, v19, v18
	v_mul_f32_e32 v19, v20, v18
	v_fma_f32 v21, -v17, v19, v20
	v_fmac_f32_e32 v19, v21, v18
	v_fma_f32 v17, -v17, v19, v20
	v_div_fmas_f32 v17, v17, v18, v19
	v_div_fixup_f32 v18, v17, v0, v14
	v_mov_b32_e32 v14, v11
	v_fma_f32 v17, -v18, v18, 1.0
	v_cmpx_lt_f32_e32 0, v17
	s_cbranch_execz .LBB0_18
; %bb.28:                               ;   in Loop: Header=BB0_19 Depth=1
	v_div_scale_f32 v14, null, v17, v17, v11
	v_rcp_f32_e32 v19, v14
	v_fma_f32 v20, -v14, v19, 1.0
	v_fmac_f32_e32 v19, v20, v19
	v_div_scale_f32 v20, vcc_lo, v11, v17, v11
	v_mul_f32_e32 v21, v20, v19
	v_fma_f32 v22, -v14, v21, v20
	v_fmac_f32_e32 v21, v22, v19
	v_fma_f32 v14, -v14, v21, v20
	v_div_fmas_f32 v14, v14, v19, v21
	v_div_fixup_f32 v14, v14, v17, v11
	v_sub_f32_e32 v14, v16, v14
	s_branch .LBB0_18
.LBB0_29:
	s_or_b32 exec_lo, exec_lo, s6
	v_mov_b32_e32 v1, 1.0
	v_fmamk_f32 v1, v17, 0x3bdcd6ff, v1
	v_mul_f32_e32 v2, 0x4f800000, v1
	v_cmp_gt_f32_e32 vcc_lo, 0xf800000, v1
	v_cndmask_b32_e32 v1, v1, v2, vcc_lo
	v_sqrt_f32_e32 v2, v1
	v_add_nc_u32_e32 v3, -1, v2
	v_add_nc_u32_e32 v6, 1, v2
	v_fma_f32 v7, -v3, v2, v1
	v_fma_f32 v8, -v6, v2, v1
	v_cmp_ge_f32_e64 s0, 0, v7
	v_cndmask_b32_e64 v2, v2, v3, s0
	v_cmp_lt_f32_e64 s0, 0, v8
	v_cndmask_b32_e64 v2, v2, v6, s0
	v_mul_f32_e32 v3, 0x37800000, v2
	v_cndmask_b32_e32 v2, v2, v3, vcc_lo
	v_cmp_class_f32_e64 vcc_lo, v1, 0x260
	v_cndmask_b32_e32 v1, v2, v1, vcc_lo
	v_add_f32_e32 v1, 1.0, v1
	v_add_f32_e32 v2, -2.0, v1
	v_div_scale_f32 v3, null, v1, v1, v2
	v_div_scale_f32 v8, vcc_lo, v2, v1, v2
	v_rcp_f32_e32 v6, v3
	v_fma_f32 v7, -v3, v6, 1.0
	v_fmac_f32_e32 v6, v7, v6
	v_mul_f32_e32 v7, v8, v6
	v_fma_f32 v9, -v3, v7, v8
	v_fmac_f32_e32 v7, v9, v6
	v_fma_f32 v3, -v3, v7, v8
	v_div_fmas_f32 v3, v3, v6, v7
	v_sub_f32_e32 v6, 1.0, v19
	v_mul_f32_e32 v7, v0, v0
	v_div_fixup_f32 v1, v3, v1, v2
	v_sub_f32_e32 v2, v6, v19
	v_fmaak_f32 v3, 4.0, v7, 0xc0400000
	v_mul_f32_e32 v6, 0x3ec00000, v1
	v_mul_f32_e32 v2, v3, v2
	v_fma_f32 v3, v1, v6, -1.0
	v_mul_f32_e32 v6, v1, v1
	v_mul_f32_e32 v2, v14, v2
	;; [unrolled: 1-line block ×3, first 2 shown]
	v_sub_f32_e32 v1, 1.0, v1
	v_fma_f32 v6, 0x3e800000, v6, 1.0
	v_mul_f32_e32 v2, v3, v2
	v_div_scale_f32 v7, null, v1, v1, v6
	v_div_scale_f32 v13, vcc_lo, v6, v1, v6
	v_div_scale_f32 v8, null, 0x40c00000, 0x40c00000, v2
	v_rcp_f32_e32 v9, v7
	v_rcp_f32_e32 v10, v8
	v_fma_f32 v11, -v7, v9, 1.0
	v_fma_f32 v12, -v8, v10, 1.0
	v_fmac_f32_e32 v9, v11, v9
	v_div_scale_f32 v11, s0, v2, 0x40c00000, v2
	v_fmac_f32_e32 v10, v12, v10
	v_mul_f32_e32 v12, v13, v9
	v_mul_f32_e32 v17, v11, v10
	v_fma_f32 v18, -v7, v12, v13
	v_fma_f32 v19, -v8, v17, v11
	v_fmac_f32_e32 v12, v18, v9
	v_fmac_f32_e32 v17, v19, v10
	v_fma_f32 v7, -v7, v12, v13
	v_fma_f32 v8, -v8, v17, v11
	v_div_fmas_f32 v7, v7, v9, v12
	s_mov_b32 vcc_lo, s0
	v_div_fmas_f32 v8, v8, v10, v17
	v_div_fixup_f32 v1, v7, v1, v6
	v_div_fixup_f32 v2, v8, 0x40c00000, v2
	v_sub_f32_e32 v2, v2, v15
	v_mul_f32_e32 v2, v3, v2
	v_fmac_f32_e32 v14, 0x3e800000, v2
	v_mul_f32_e32 v0, v0, v14
	v_fmac_f32_e32 v16, v3, v0
	v_mul_f32_e32 v2, v1, v16
	v_lshlrev_b64 v[0:1], 2, v[4:5]
	v_mul_f32_e32 v2, 0x4ac1fe21, v2
	s_waitcnt lgkmcnt(0)
	v_add_co_u32 v0, vcc_lo, s2, v0
	v_add_co_ci_u32_e64 v1, null, s3, v1, vcc_lo
	global_store_dword v[0:1], v2, off
.LBB0_30:
	s_endpgm
	.section	.rodata,"a",@progbits
	.p2align	6, 0x0
	.amdhsa_kernel _Z15kernel_distancePK15HIP_vector_typeIfLj4EEPfi
		.amdhsa_group_segment_fixed_size 0
		.amdhsa_private_segment_fixed_size 0
		.amdhsa_kernarg_size 280
		.amdhsa_user_sgpr_count 6
		.amdhsa_user_sgpr_private_segment_buffer 1
		.amdhsa_user_sgpr_dispatch_ptr 0
		.amdhsa_user_sgpr_queue_ptr 0
		.amdhsa_user_sgpr_kernarg_segment_ptr 1
		.amdhsa_user_sgpr_dispatch_id 0
		.amdhsa_user_sgpr_flat_scratch_init 0
		.amdhsa_user_sgpr_private_segment_size 0
		.amdhsa_wavefront_size32 1
		.amdhsa_uses_dynamic_stack 0
		.amdhsa_system_sgpr_private_segment_wavefront_offset 0
		.amdhsa_system_sgpr_workgroup_id_x 1
		.amdhsa_system_sgpr_workgroup_id_y 0
		.amdhsa_system_sgpr_workgroup_id_z 0
		.amdhsa_system_sgpr_workgroup_info 0
		.amdhsa_system_vgpr_workitem_id 0
		.amdhsa_next_free_vgpr 27
		.amdhsa_next_free_sgpr 11
		.amdhsa_reserve_vcc 1
		.amdhsa_reserve_flat_scratch 0
		.amdhsa_float_round_mode_32 0
		.amdhsa_float_round_mode_16_64 0
		.amdhsa_float_denorm_mode_32 3
		.amdhsa_float_denorm_mode_16_64 3
		.amdhsa_dx10_clamp 1
		.amdhsa_ieee_mode 1
		.amdhsa_fp16_overflow 0
		.amdhsa_workgroup_processor_mode 1
		.amdhsa_memory_ordered 1
		.amdhsa_forward_progress 1
		.amdhsa_shared_vgpr_count 0
		.amdhsa_exception_fp_ieee_invalid_op 0
		.amdhsa_exception_fp_denorm_src 0
		.amdhsa_exception_fp_ieee_div_zero 0
		.amdhsa_exception_fp_ieee_overflow 0
		.amdhsa_exception_fp_ieee_underflow 0
		.amdhsa_exception_fp_ieee_inexact 0
		.amdhsa_exception_int_div_zero 0
	.end_amdhsa_kernel
	.text
.Lfunc_end0:
	.size	_Z15kernel_distancePK15HIP_vector_typeIfLj4EEPfi, .Lfunc_end0-_Z15kernel_distancePK15HIP_vector_typeIfLj4EEPfi
                                        ; -- End function
	.set _Z15kernel_distancePK15HIP_vector_typeIfLj4EEPfi.num_vgpr, 27
	.set _Z15kernel_distancePK15HIP_vector_typeIfLj4EEPfi.num_agpr, 0
	.set _Z15kernel_distancePK15HIP_vector_typeIfLj4EEPfi.numbered_sgpr, 11
	.set _Z15kernel_distancePK15HIP_vector_typeIfLj4EEPfi.num_named_barrier, 0
	.set _Z15kernel_distancePK15HIP_vector_typeIfLj4EEPfi.private_seg_size, 0
	.set _Z15kernel_distancePK15HIP_vector_typeIfLj4EEPfi.uses_vcc, 1
	.set _Z15kernel_distancePK15HIP_vector_typeIfLj4EEPfi.uses_flat_scratch, 0
	.set _Z15kernel_distancePK15HIP_vector_typeIfLj4EEPfi.has_dyn_sized_stack, 0
	.set _Z15kernel_distancePK15HIP_vector_typeIfLj4EEPfi.has_recursion, 0
	.set _Z15kernel_distancePK15HIP_vector_typeIfLj4EEPfi.has_indirect_call, 0
	.section	.AMDGPU.csdata,"",@progbits
; Kernel info:
; codeLenInByte = 6508
; TotalNumSgprs: 13
; NumVgprs: 27
; ScratchSize: 0
; MemoryBound: 0
; FloatMode: 240
; IeeeMode: 1
; LDSByteSize: 0 bytes/workgroup (compile time only)
; SGPRBlocks: 0
; VGPRBlocks: 3
; NumSGPRsForWavesPerEU: 13
; NumVGPRsForWavesPerEU: 27
; Occupancy: 16
; WaveLimiterHint : 0
; COMPUTE_PGM_RSRC2:SCRATCH_EN: 0
; COMPUTE_PGM_RSRC2:USER_SGPR: 6
; COMPUTE_PGM_RSRC2:TRAP_HANDLER: 0
; COMPUTE_PGM_RSRC2:TGID_X_EN: 1
; COMPUTE_PGM_RSRC2:TGID_Y_EN: 0
; COMPUTE_PGM_RSRC2:TGID_Z_EN: 0
; COMPUTE_PGM_RSRC2:TIDIG_COMP_CNT: 0
	.text
	.p2alignl 6, 3214868480
	.fill 48, 4, 3214868480
	.section	.AMDGPU.gpr_maximums,"",@progbits
	.set amdgpu.max_num_vgpr, 0
	.set amdgpu.max_num_agpr, 0
	.set amdgpu.max_num_sgpr, 0
	.text
	.type	__hip_cuid_f9309acc71d77ced,@object ; @__hip_cuid_f9309acc71d77ced
	.section	.bss,"aw",@nobits
	.globl	__hip_cuid_f9309acc71d77ced
__hip_cuid_f9309acc71d77ced:
	.byte	0                               ; 0x0
	.size	__hip_cuid_f9309acc71d77ced, 1

	.ident	"AMD clang version 22.0.0git (https://github.com/RadeonOpenCompute/llvm-project roc-7.2.4 26084 f58b06dce1f9c15707c5f808fd002e18c2accf7e)"
	.section	".note.GNU-stack","",@progbits
	.addrsig
	.addrsig_sym __hip_cuid_f9309acc71d77ced
	.amdgpu_metadata
---
amdhsa.kernels:
  - .args:
      - .actual_access:  read_only
        .address_space:  global
        .offset:         0
        .size:           8
        .value_kind:     global_buffer
      - .actual_access:  write_only
        .address_space:  global
        .offset:         8
        .size:           8
        .value_kind:     global_buffer
      - .offset:         16
        .size:           4
        .value_kind:     by_value
      - .offset:         24
        .size:           4
        .value_kind:     hidden_block_count_x
      - .offset:         28
        .size:           4
        .value_kind:     hidden_block_count_y
      - .offset:         32
        .size:           4
        .value_kind:     hidden_block_count_z
      - .offset:         36
        .size:           2
        .value_kind:     hidden_group_size_x
      - .offset:         38
        .size:           2
        .value_kind:     hidden_group_size_y
      - .offset:         40
        .size:           2
        .value_kind:     hidden_group_size_z
      - .offset:         42
        .size:           2
        .value_kind:     hidden_remainder_x
      - .offset:         44
        .size:           2
        .value_kind:     hidden_remainder_y
      - .offset:         46
        .size:           2
        .value_kind:     hidden_remainder_z
      - .offset:         64
        .size:           8
        .value_kind:     hidden_global_offset_x
      - .offset:         72
        .size:           8
        .value_kind:     hidden_global_offset_y
      - .offset:         80
        .size:           8
        .value_kind:     hidden_global_offset_z
      - .offset:         88
        .size:           2
        .value_kind:     hidden_grid_dims
    .group_segment_fixed_size: 0
    .kernarg_segment_align: 8
    .kernarg_segment_size: 280
    .language:       OpenCL C
    .language_version:
      - 2
      - 0
    .max_flat_workgroup_size: 1024
    .name:           _Z15kernel_distancePK15HIP_vector_typeIfLj4EEPfi
    .private_segment_fixed_size: 0
    .sgpr_count:     13
    .sgpr_spill_count: 0
    .symbol:         _Z15kernel_distancePK15HIP_vector_typeIfLj4EEPfi.kd
    .uniform_work_group_size: 1
    .uses_dynamic_stack: false
    .vgpr_count:     27
    .vgpr_spill_count: 0
    .wavefront_size: 32
    .workgroup_processor_mode: 1
amdhsa.target:   amdgcn-amd-amdhsa--gfx1030
amdhsa.version:
  - 1
  - 2
...

	.end_amdgpu_metadata
